;; amdgpu-corpus repo=ROCm/rocFFT kind=compiled arch=gfx906 opt=O3
	.text
	.amdgcn_target "amdgcn-amd-amdhsa--gfx906"
	.amdhsa_code_object_version 6
	.protected	fft_rtc_fwd_len1080_factors_6_10_6_3_wgs_216_tpt_108_halfLds_dp_op_CI_CI_unitstride_sbrr_dirReg ; -- Begin function fft_rtc_fwd_len1080_factors_6_10_6_3_wgs_216_tpt_108_halfLds_dp_op_CI_CI_unitstride_sbrr_dirReg
	.globl	fft_rtc_fwd_len1080_factors_6_10_6_3_wgs_216_tpt_108_halfLds_dp_op_CI_CI_unitstride_sbrr_dirReg
	.p2align	8
	.type	fft_rtc_fwd_len1080_factors_6_10_6_3_wgs_216_tpt_108_halfLds_dp_op_CI_CI_unitstride_sbrr_dirReg,@function
fft_rtc_fwd_len1080_factors_6_10_6_3_wgs_216_tpt_108_halfLds_dp_op_CI_CI_unitstride_sbrr_dirReg: ; @fft_rtc_fwd_len1080_factors_6_10_6_3_wgs_216_tpt_108_halfLds_dp_op_CI_CI_unitstride_sbrr_dirReg
; %bb.0:
	s_load_dwordx4 s[12:15], s[4:5], 0x58
	s_load_dwordx4 s[8:11], s[4:5], 0x0
	;; [unrolled: 1-line block ×3, first 2 shown]
	v_mul_u32_u24_e32 v1, 0x25f, v0
	v_lshrrev_b32_e32 v72, 16, v1
	v_mov_b32_e32 v3, 0
	s_waitcnt lgkmcnt(0)
	v_cmp_lt_u64_e64 s[0:1], s[10:11], 2
	v_mov_b32_e32 v1, 0
	v_lshl_add_u32 v5, s6, 1, v72
	v_mov_b32_e32 v6, v3
	s_and_b64 vcc, exec, s[0:1]
	v_mov_b32_e32 v2, 0
	s_cbranch_vccnz .LBB0_8
; %bb.1:
	s_load_dwordx2 s[0:1], s[4:5], 0x10
	s_add_u32 s2, s18, 8
	s_addc_u32 s3, s19, 0
	s_add_u32 s6, s16, 8
	v_mov_b32_e32 v1, 0
	s_addc_u32 s7, s17, 0
	v_mov_b32_e32 v2, 0
	s_waitcnt lgkmcnt(0)
	s_add_u32 s20, s0, 8
	v_mov_b32_e32 v51, v2
	s_addc_u32 s21, s1, 0
	s_mov_b64 s[22:23], 1
	v_mov_b32_e32 v50, v1
.LBB0_2:                                ; =>This Inner Loop Header: Depth=1
	s_load_dwordx2 s[24:25], s[20:21], 0x0
                                        ; implicit-def: $vgpr52_vgpr53
	s_waitcnt lgkmcnt(0)
	v_or_b32_e32 v4, s25, v6
	v_cmp_ne_u64_e32 vcc, 0, v[3:4]
	s_and_saveexec_b64 s[0:1], vcc
	s_xor_b64 s[26:27], exec, s[0:1]
	s_cbranch_execz .LBB0_4
; %bb.3:                                ;   in Loop: Header=BB0_2 Depth=1
	v_cvt_f32_u32_e32 v4, s24
	v_cvt_f32_u32_e32 v7, s25
	s_sub_u32 s0, 0, s24
	s_subb_u32 s1, 0, s25
	v_mac_f32_e32 v4, 0x4f800000, v7
	v_rcp_f32_e32 v4, v4
	v_mul_f32_e32 v4, 0x5f7ffffc, v4
	v_mul_f32_e32 v7, 0x2f800000, v4
	v_trunc_f32_e32 v7, v7
	v_mac_f32_e32 v4, 0xcf800000, v7
	v_cvt_u32_f32_e32 v7, v7
	v_cvt_u32_f32_e32 v4, v4
	v_mul_lo_u32 v8, s0, v7
	v_mul_hi_u32 v9, s0, v4
	v_mul_lo_u32 v11, s1, v4
	v_mul_lo_u32 v10, s0, v4
	v_add_u32_e32 v8, v9, v8
	v_add_u32_e32 v8, v8, v11
	v_mul_hi_u32 v9, v4, v10
	v_mul_lo_u32 v11, v4, v8
	v_mul_hi_u32 v13, v4, v8
	v_mul_hi_u32 v12, v7, v10
	v_mul_lo_u32 v10, v7, v10
	v_mul_hi_u32 v14, v7, v8
	v_add_co_u32_e32 v9, vcc, v9, v11
	v_addc_co_u32_e32 v11, vcc, 0, v13, vcc
	v_mul_lo_u32 v8, v7, v8
	v_add_co_u32_e32 v9, vcc, v9, v10
	v_addc_co_u32_e32 v9, vcc, v11, v12, vcc
	v_addc_co_u32_e32 v10, vcc, 0, v14, vcc
	v_add_co_u32_e32 v8, vcc, v9, v8
	v_addc_co_u32_e32 v9, vcc, 0, v10, vcc
	v_add_co_u32_e32 v4, vcc, v4, v8
	v_addc_co_u32_e32 v7, vcc, v7, v9, vcc
	v_mul_lo_u32 v8, s0, v7
	v_mul_hi_u32 v9, s0, v4
	v_mul_lo_u32 v10, s1, v4
	v_mul_lo_u32 v11, s0, v4
	v_add_u32_e32 v8, v9, v8
	v_add_u32_e32 v8, v8, v10
	v_mul_lo_u32 v12, v4, v8
	v_mul_hi_u32 v13, v4, v11
	v_mul_hi_u32 v14, v4, v8
	;; [unrolled: 1-line block ×3, first 2 shown]
	v_mul_lo_u32 v11, v7, v11
	v_mul_hi_u32 v9, v7, v8
	v_add_co_u32_e32 v12, vcc, v13, v12
	v_addc_co_u32_e32 v13, vcc, 0, v14, vcc
	v_mul_lo_u32 v8, v7, v8
	v_add_co_u32_e32 v11, vcc, v12, v11
	v_addc_co_u32_e32 v10, vcc, v13, v10, vcc
	v_addc_co_u32_e32 v9, vcc, 0, v9, vcc
	v_add_co_u32_e32 v8, vcc, v10, v8
	v_addc_co_u32_e32 v9, vcc, 0, v9, vcc
	v_add_co_u32_e32 v4, vcc, v4, v8
	v_addc_co_u32_e32 v9, vcc, v7, v9, vcc
	v_mad_u64_u32 v[7:8], s[0:1], v5, v9, 0
	v_mul_hi_u32 v10, v5, v4
	v_add_co_u32_e32 v11, vcc, v10, v7
	v_addc_co_u32_e32 v12, vcc, 0, v8, vcc
	v_mad_u64_u32 v[7:8], s[0:1], v6, v4, 0
	v_mad_u64_u32 v[9:10], s[0:1], v6, v9, 0
	v_add_co_u32_e32 v4, vcc, v11, v7
	v_addc_co_u32_e32 v4, vcc, v12, v8, vcc
	v_addc_co_u32_e32 v7, vcc, 0, v10, vcc
	v_add_co_u32_e32 v4, vcc, v4, v9
	v_addc_co_u32_e32 v9, vcc, 0, v7, vcc
	v_mul_lo_u32 v10, s25, v4
	v_mul_lo_u32 v11, s24, v9
	v_mad_u64_u32 v[7:8], s[0:1], s24, v4, 0
	v_add3_u32 v8, v8, v11, v10
	v_sub_u32_e32 v10, v6, v8
	v_mov_b32_e32 v11, s25
	v_sub_co_u32_e32 v7, vcc, v5, v7
	v_subb_co_u32_e64 v10, s[0:1], v10, v11, vcc
	v_subrev_co_u32_e64 v11, s[0:1], s24, v7
	v_subbrev_co_u32_e64 v10, s[0:1], 0, v10, s[0:1]
	v_cmp_le_u32_e64 s[0:1], s25, v10
	v_cndmask_b32_e64 v12, 0, -1, s[0:1]
	v_cmp_le_u32_e64 s[0:1], s24, v11
	v_cndmask_b32_e64 v11, 0, -1, s[0:1]
	v_cmp_eq_u32_e64 s[0:1], s25, v10
	v_cndmask_b32_e64 v10, v12, v11, s[0:1]
	v_add_co_u32_e64 v11, s[0:1], 2, v4
	v_addc_co_u32_e64 v12, s[0:1], 0, v9, s[0:1]
	v_add_co_u32_e64 v13, s[0:1], 1, v4
	v_addc_co_u32_e64 v14, s[0:1], 0, v9, s[0:1]
	v_subb_co_u32_e32 v8, vcc, v6, v8, vcc
	v_cmp_ne_u32_e64 s[0:1], 0, v10
	v_cmp_le_u32_e32 vcc, s25, v8
	v_cndmask_b32_e64 v10, v14, v12, s[0:1]
	v_cndmask_b32_e64 v12, 0, -1, vcc
	v_cmp_le_u32_e32 vcc, s24, v7
	v_cndmask_b32_e64 v7, 0, -1, vcc
	v_cmp_eq_u32_e32 vcc, s25, v8
	v_cndmask_b32_e32 v7, v12, v7, vcc
	v_cmp_ne_u32_e32 vcc, 0, v7
	v_cndmask_b32_e64 v7, v13, v11, s[0:1]
	v_cndmask_b32_e32 v53, v9, v10, vcc
	v_cndmask_b32_e32 v52, v4, v7, vcc
.LBB0_4:                                ;   in Loop: Header=BB0_2 Depth=1
	s_andn2_saveexec_b64 s[0:1], s[26:27]
	s_cbranch_execz .LBB0_6
; %bb.5:                                ;   in Loop: Header=BB0_2 Depth=1
	v_cvt_f32_u32_e32 v4, s24
	s_sub_i32 s26, 0, s24
	v_mov_b32_e32 v53, v3
	v_rcp_iflag_f32_e32 v4, v4
	v_mul_f32_e32 v4, 0x4f7ffffe, v4
	v_cvt_u32_f32_e32 v4, v4
	v_mul_lo_u32 v7, s26, v4
	v_mul_hi_u32 v7, v4, v7
	v_add_u32_e32 v4, v4, v7
	v_mul_hi_u32 v4, v5, v4
	v_mul_lo_u32 v7, v4, s24
	v_add_u32_e32 v8, 1, v4
	v_sub_u32_e32 v7, v5, v7
	v_subrev_u32_e32 v9, s24, v7
	v_cmp_le_u32_e32 vcc, s24, v7
	v_cndmask_b32_e32 v7, v7, v9, vcc
	v_cndmask_b32_e32 v4, v4, v8, vcc
	v_add_u32_e32 v8, 1, v4
	v_cmp_le_u32_e32 vcc, s24, v7
	v_cndmask_b32_e32 v52, v4, v8, vcc
.LBB0_6:                                ;   in Loop: Header=BB0_2 Depth=1
	s_or_b64 exec, exec, s[0:1]
	v_mul_lo_u32 v4, v53, s24
	v_mul_lo_u32 v9, v52, s25
	v_mad_u64_u32 v[7:8], s[0:1], v52, s24, 0
	s_load_dwordx2 s[0:1], s[6:7], 0x0
	s_load_dwordx2 s[24:25], s[2:3], 0x0
	v_add3_u32 v4, v8, v9, v4
	v_sub_co_u32_e32 v5, vcc, v5, v7
	v_subb_co_u32_e32 v4, vcc, v6, v4, vcc
	s_waitcnt lgkmcnt(0)
	v_mul_lo_u32 v6, s0, v4
	v_mul_lo_u32 v7, s1, v5
	v_mad_u64_u32 v[1:2], s[0:1], s0, v5, v[1:2]
	v_mul_lo_u32 v4, s24, v4
	v_mul_lo_u32 v8, s25, v5
	v_mad_u64_u32 v[50:51], s[0:1], s24, v5, v[50:51]
	s_add_u32 s22, s22, 1
	s_addc_u32 s23, s23, 0
	s_add_u32 s2, s2, 8
	v_add3_u32 v51, v8, v51, v4
	s_addc_u32 s3, s3, 0
	v_mov_b32_e32 v4, s10
	s_add_u32 s6, s6, 8
	v_mov_b32_e32 v5, s11
	s_addc_u32 s7, s7, 0
	v_cmp_ge_u64_e32 vcc, s[22:23], v[4:5]
	s_add_u32 s20, s20, 8
	v_add3_u32 v2, v7, v2, v6
	s_addc_u32 s21, s21, 0
	s_cbranch_vccnz .LBB0_9
; %bb.7:                                ;   in Loop: Header=BB0_2 Depth=1
	v_mov_b32_e32 v5, v52
	v_mov_b32_e32 v6, v53
	s_branch .LBB0_2
.LBB0_8:
	v_mov_b32_e32 v51, v2
	v_mov_b32_e32 v53, v6
	;; [unrolled: 1-line block ×4, first 2 shown]
.LBB0_9:
	s_load_dwordx2 s[2:3], s[4:5], 0x28
	s_lshl_b64 s[6:7], s[10:11], 3
	s_add_u32 s4, s18, s6
	s_addc_u32 s5, s19, s7
                                        ; implicit-def: $vgpr76
	s_waitcnt lgkmcnt(0)
	v_cmp_gt_u64_e64 s[0:1], s[2:3], v[52:53]
	v_cmp_le_u64_e32 vcc, s[2:3], v[52:53]
	s_and_saveexec_b64 s[2:3], vcc
	s_xor_b64 s[2:3], exec, s[2:3]
; %bb.10:
	s_mov_b32 s10, 0x25ed098
	v_mul_hi_u32 v1, v0, s10
	v_mul_u32_u24_e32 v1, 0x6c, v1
	v_sub_u32_e32 v76, v0, v1
                                        ; implicit-def: $vgpr0
                                        ; implicit-def: $vgpr1_vgpr2
; %bb.11:
	s_or_saveexec_b64 s[2:3], s[2:3]
	s_load_dwordx2 s[4:5], s[4:5], 0x0
                                        ; implicit-def: $vgpr44_vgpr45
                                        ; implicit-def: $vgpr40_vgpr41
                                        ; implicit-def: $vgpr36_vgpr37
                                        ; implicit-def: $vgpr32_vgpr33
                                        ; implicit-def: $vgpr24_vgpr25
                                        ; implicit-def: $vgpr28_vgpr29
                                        ; implicit-def: $vgpr16_vgpr17
                                        ; implicit-def: $vgpr12_vgpr13
                                        ; implicit-def: $vgpr20_vgpr21
                                        ; implicit-def: $vgpr48_vgpr49
                                        ; implicit-def: $vgpr8_vgpr9
                                        ; implicit-def: $vgpr4_vgpr5
	s_xor_b64 exec, exec, s[2:3]
	s_cbranch_execz .LBB0_15
; %bb.12:
	s_add_u32 s6, s16, s6
	s_addc_u32 s7, s17, s7
	s_load_dwordx2 s[6:7], s[6:7], 0x0
	s_mov_b32 s10, 0x25ed098
	v_mul_hi_u32 v5, v0, s10
	s_movk_i32 s10, 0x3000
                                        ; implicit-def: $vgpr26_vgpr27
                                        ; implicit-def: $vgpr30_vgpr31
                                        ; implicit-def: $vgpr34_vgpr35
                                        ; implicit-def: $vgpr38_vgpr39
                                        ; implicit-def: $vgpr42_vgpr43
	s_waitcnt lgkmcnt(0)
	v_mul_lo_u32 v6, s7, v52
	v_mul_lo_u32 v7, s6, v53
	v_mad_u64_u32 v[3:4], s[6:7], s6, v52, 0
	v_mul_u32_u24_e32 v5, 0x6c, v5
	v_sub_u32_e32 v76, v0, v5
	v_add3_u32 v4, v4, v7, v6
	v_lshlrev_b64 v[3:4], 4, v[3:4]
	v_mov_b32_e32 v0, s13
	v_add_co_u32_e32 v3, vcc, s12, v3
	v_addc_co_u32_e32 v4, vcc, v0, v4, vcc
	v_lshlrev_b64 v[0:1], 4, v[1:2]
	v_lshlrev_b32_e32 v2, 4, v76
	v_add_co_u32_e32 v0, vcc, v3, v0
	v_addc_co_u32_e32 v1, vcc, v4, v1, vcc
	v_add_co_u32_e32 v0, vcc, v0, v2
	v_addc_co_u32_e32 v1, vcc, 0, v1, vcc
	s_movk_i32 s6, 0x1000
	v_add_co_u32_e32 v10, vcc, s6, v0
	v_addc_co_u32_e32 v11, vcc, 0, v1, vcc
	s_movk_i32 s6, 0x2000
	v_add_co_u32_e32 v40, vcc, s6, v0
	v_addc_co_u32_e32 v41, vcc, 0, v1, vcc
	v_add_co_u32_e32 v22, vcc, 0x3000, v0
	global_load_dwordx4 v[2:5], v[0:1], off
	global_load_dwordx4 v[6:9], v[0:1], off offset:2880
	global_load_dwordx4 v[46:49], v[10:11], off offset:1664
	global_load_dwordx4 v[18:21], v[40:41], off offset:448
	v_addc_co_u32_e32 v23, vcc, 0, v1, vcc
	global_load_dwordx4 v[10:13], v[40:41], off offset:3328
	global_load_dwordx4 v[14:17], v[22:23], off offset:2112
	s_movk_i32 s6, 0x48
	v_cmp_gt_u32_e32 vcc, s6, v76
                                        ; implicit-def: $vgpr22_vgpr23
	s_and_saveexec_b64 s[6:7], vcc
	s_cbranch_execz .LBB0_14
; %bb.13:
	v_add_co_u32_e32 v38, vcc, 0x1000, v0
	v_addc_co_u32_e32 v39, vcc, 0, v1, vcc
	global_load_dwordx4 v[22:25], v[38:39], off offset:512
	global_load_dwordx4 v[30:33], v[38:39], off offset:3392
	;; [unrolled: 1-line block ×4, first 2 shown]
	v_add_co_u32_e32 v0, vcc, s10, v0
	v_addc_co_u32_e32 v1, vcc, 0, v1, vcc
	global_load_dwordx4 v[38:41], v[0:1], off offset:960
	global_load_dwordx4 v[42:45], v[0:1], off offset:3840
.LBB0_14:
	s_or_b64 exec, exec, s[6:7]
.LBB0_15:
	s_or_b64 exec, exec, s[2:3]
	s_waitcnt vmcnt(0)
	v_add_f64 v[0:1], v[14:15], v[18:19]
	v_add_f64 v[54:55], v[10:11], v[46:47]
	v_add_f64 v[56:57], v[20:21], -v[16:17]
	v_add_f64 v[60:61], v[16:17], v[20:21]
	v_add_f64 v[73:74], v[42:43], v[34:35]
	s_mov_b32 s2, 0xe8584caa
	s_mov_b32 s3, 0x3febb67a
	;; [unrolled: 1-line block ×3, first 2 shown]
	v_fma_f64 v[0:1], v[0:1], -0.5, v[6:7]
	s_mov_b32 s6, s2
	v_add_f64 v[58:59], v[48:49], -v[12:13]
	v_add_f64 v[64:65], v[18:19], -v[14:15]
	v_add_f64 v[66:67], v[46:47], v[2:3]
	v_add_f64 v[68:69], v[18:19], v[6:7]
	v_add_f64 v[77:78], v[36:37], -v[44:45]
	v_fma_f64 v[60:61], v[60:61], -0.5, v[8:9]
	v_fma_f64 v[62:63], v[56:57], s[2:3], v[0:1]
	v_add_f64 v[79:80], v[44:45], v[36:37]
	v_fma_f64 v[6:7], v[56:57], s[6:7], v[0:1]
	v_fma_f64 v[2:3], v[54:55], -0.5, v[2:3]
	v_fma_f64 v[73:74], v[73:74], -0.5, v[22:23]
	v_add_f64 v[70:71], v[38:39], v[30:31]
	v_add_f64 v[0:1], v[34:35], -v[42:43]
	v_fma_f64 v[18:19], v[64:65], s[6:7], v[60:61]
	v_mul_f64 v[54:55], v[62:63], 0.5
	v_fma_f64 v[56:57], v[64:65], s[2:3], v[60:61]
	v_mul_f64 v[60:61], v[6:7], -0.5
	v_add_f64 v[64:65], v[14:15], v[68:69]
	v_fma_f64 v[68:69], v[79:80], -0.5, v[24:25]
	v_fma_f64 v[85:86], v[58:59], s[2:3], v[2:3]
	v_fma_f64 v[2:3], v[58:59], s[6:7], v[2:3]
	;; [unrolled: 1-line block ×4, first 2 shown]
	v_add_f64 v[66:67], v[10:11], v[66:67]
	v_fma_f64 v[87:88], v[18:19], s[2:3], v[54:55]
	v_fma_f64 v[73:74], v[56:57], s[2:3], v[60:61]
	v_fma_f64 v[70:71], v[70:71], -0.5, v[26:27]
	v_add_f64 v[89:90], v[32:33], -v[40:41]
	v_fma_f64 v[54:55], v[0:1], s[6:7], v[68:69]
	v_fma_f64 v[60:61], v[0:1], s[2:3], v[68:69]
	v_mul_f64 v[0:1], v[58:59], 0.5
	v_mul_f64 v[91:92], v[14:15], -0.5
	v_add_f64 v[77:78], v[64:65], v[66:67]
	v_add_f64 v[83:84], v[66:67], -v[64:65]
	v_add_f64 v[79:80], v[85:86], v[87:88]
	v_fma_f64 v[64:65], v[89:90], s[2:3], v[70:71]
	v_fma_f64 v[68:69], v[89:90], s[6:7], v[70:71]
	v_add_f64 v[81:82], v[2:3], v[73:74]
	v_fma_f64 v[66:67], v[54:55], s[2:3], v[0:1]
	v_fma_f64 v[70:71], v[60:61], s[2:3], v[91:92]
	v_and_b32_e32 v0, 1, v72
	v_mov_b32_e32 v1, 0x438
	v_cmp_eq_u32_e32 vcc, 1, v0
	v_add_f64 v[85:86], v[85:86], -v[87:88]
	v_add_f64 v[87:88], v[2:3], -v[73:74]
	v_cndmask_b32_e32 v74, 0, v1, vcc
	v_add_f64 v[0:1], v[64:65], -v[66:67]
	v_add_f64 v[2:3], v[68:69], -v[70:71]
	v_mul_u32_u24_e32 v72, 6, v76
	v_lshl_add_u32 v73, v72, 3, 0
	s_movk_i32 s10, 0x48
	v_lshl_add_u32 v72, v74, 3, v73
	v_cmp_gt_u32_e32 vcc, s10, v76
	ds_write_b128 v72, v[77:80]
	ds_write_b128 v72, v[81:84] offset:16
	ds_write_b128 v72, v[85:88] offset:32
	s_and_saveexec_b64 s[10:11], vcc
	s_cbranch_execz .LBB0_17
; %bb.16:
	v_add_f64 v[26:27], v[30:31], v[26:27]
	v_add_f64 v[22:23], v[34:35], v[22:23]
	;; [unrolled: 1-line block ×7, first 2 shown]
	v_add_f64 v[70:71], v[26:27], -v[22:23]
	ds_write_b128 v72, v[64:67] offset:5184
	ds_write_b128 v72, v[68:71] offset:5200
	;; [unrolled: 1-line block ×3, first 2 shown]
.LBB0_17:
	s_or_b64 exec, exec, s[10:11]
	v_add_f64 v[22:23], v[12:13], v[48:49]
	v_add_f64 v[8:9], v[20:21], v[8:9]
	;; [unrolled: 1-line block ×4, first 2 shown]
	v_add_f64 v[10:11], v[46:47], -v[10:11]
	v_mul_f64 v[20:21], v[62:63], s[6:7]
	v_mul_f64 v[42:43], v[56:57], -0.5
	v_add_f64 v[30:31], v[30:31], -v[38:39]
	v_fma_f64 v[4:5], v[22:23], -0.5, v[4:5]
	v_mul_f64 v[22:23], v[58:59], s[6:7]
	v_mul_f64 v[38:39], v[60:61], -0.5
	v_add_f64 v[8:9], v[16:17], v[8:9]
	v_fma_f64 v[16:17], v[34:35], -0.5, v[28:29]
	v_add_f64 v[12:13], v[12:13], v[26:27]
	v_fma_f64 v[18:19], v[18:19], 0.5, v[20:21]
	v_fma_f64 v[6:7], v[6:7], s[6:7], v[42:43]
	v_fma_f64 v[20:21], v[10:11], s[6:7], v[4:5]
	;; [unrolled: 1-line block ×3, first 2 shown]
	v_fma_f64 v[42:43], v[54:55], 0.5, v[22:23]
	v_fma_f64 v[34:35], v[14:15], s[6:7], v[38:39]
	v_fma_f64 v[46:47], v[30:31], s[6:7], v[16:17]
	;; [unrolled: 1-line block ×3, first 2 shown]
	v_add_f64 v[54:55], v[8:9], v[12:13]
	v_add_f64 v[60:61], v[12:13], -v[8:9]
	v_lshlrev_b32_e32 v80, 3, v74
	v_lshlrev_b32_e32 v8, 3, v76
	v_add3_u32 v79, 0, v80, v8
	v_mul_i32_i24_e32 v8, 0xffffffd8, v76
	v_add_f64 v[56:57], v[20:21], v[18:19]
	v_add_f64 v[58:59], v[4:5], v[6:7]
	v_add_f64 v[64:65], v[4:5], -v[6:7]
	v_add_f64 v[4:5], v[46:47], -v[42:43]
	;; [unrolled: 1-line block ×3, first 2 shown]
	v_add3_u32 v78, v73, v8, v80
	v_add_u32_e32 v49, 0x800, v78
	v_add_u32_e32 v81, 0x1000, v78
	;; [unrolled: 1-line block ×3, first 2 shown]
	v_add_f64 v[62:63], v[20:21], -v[18:19]
	s_waitcnt lgkmcnt(0)
	s_barrier
	ds_read2_b64 v[20:23], v78 offset0:108 offset1:216
	ds_read2_b64 v[16:19], v49 offset0:68 offset1:176
	;; [unrolled: 1-line block ×4, first 2 shown]
	ds_read_b64 v[26:27], v79
	ds_read_b64 v[30:31], v78 offset:7776
	v_add_u32_e32 v77, 0x6c, v76
	s_waitcnt lgkmcnt(0)
	s_barrier
	ds_write_b128 v72, v[54:57]
	ds_write_b128 v72, v[58:61] offset:16
	ds_write_b128 v72, v[62:65] offset:32
	s_and_saveexec_b64 s[2:3], vcc
	s_cbranch_execz .LBB0_19
; %bb.18:
	v_add_f64 v[28:29], v[32:33], v[28:29]
	v_add_f64 v[24:25], v[36:37], v[24:25]
	;; [unrolled: 1-line block ×7, first 2 shown]
	v_add_f64 v[40:41], v[28:29], -v[24:25]
	v_mul_u32_u24_e32 v24, 6, v77
	v_lshlrev_b32_e32 v24, 3, v24
	v_add3_u32 v24, 0, v24, v80
	ds_write_b128 v24, v[34:37]
	ds_write_b128 v24, v[38:41] offset:16
	ds_write_b128 v24, v[4:7] offset:32
.LBB0_19:
	s_or_b64 exec, exec, s[2:3]
	s_movk_i32 s2, 0xab
	v_mul_lo_u16_sdwa v24, v76, s2 dst_sel:DWORD dst_unused:UNUSED_PAD src0_sel:BYTE_0 src1_sel:DWORD
	v_lshrrev_b16_e32 v24, 10, v24
	v_mul_lo_u16_e32 v25, 6, v24
	v_sub_u16_e32 v25, v76, v25
	v_mov_b32_e32 v28, 9
	v_mul_u32_u24_sdwa v28, v25, v28 dst_sel:DWORD dst_unused:UNUSED_PAD src0_sel:BYTE_0 src1_sel:DWORD
	v_lshlrev_b32_e32 v28, 4, v28
	s_waitcnt lgkmcnt(0)
	s_barrier
	global_load_dwordx4 v[32:35], v28, s[8:9]
	global_load_dwordx4 v[36:39], v28, s[8:9] offset:16
	global_load_dwordx4 v[40:43], v28, s[8:9] offset:32
	;; [unrolled: 1-line block ×8, first 2 shown]
	ds_read2_b64 v[54:57], v78 offset0:108 offset1:216
	ds_read2_b64 v[86:89], v49 offset0:68 offset1:176
	;; [unrolled: 1-line block ×4, first 2 shown]
	ds_read_b64 v[74:75], v78 offset:7776
	ds_read_b64 v[28:29], v79
	s_mov_b32 s12, 0x134454ff
	s_mov_b32 s13, 0x3fee6f0e
	;; [unrolled: 1-line block ×12, first 2 shown]
	s_movk_i32 s20, 0x1e0
	v_mad_u32_u24 v24, v24, s20, 0
	s_waitcnt vmcnt(0) lgkmcnt(0)
	s_barrier
	v_mul_f64 v[48:49], v[54:55], v[34:35]
	v_mul_f64 v[34:35], v[20:21], v[34:35]
	;; [unrolled: 1-line block ×18, first 2 shown]
	v_fma_f64 v[20:21], v[20:21], v[32:33], -v[48:49]
	v_fma_f64 v[42:43], v[54:55], v[32:33], v[34:35]
	v_fma_f64 v[54:55], v[22:23], v[36:37], -v[98:99]
	v_fma_f64 v[48:49], v[56:57], v[36:37], v[38:39]
	;; [unrolled: 2-line block ×3, first 2 shown]
	v_fma_f64 v[56:57], v[18:19], v[44:45], -v[104:105]
	v_fma_f64 v[18:19], v[12:13], v[58:59], -v[108:109]
	v_fma_f64 v[34:35], v[90:91], v[58:59], v[60:61]
	v_fma_f64 v[58:59], v[14:15], v[62:63], -v[110:111]
	v_fma_f64 v[60:61], v[10:11], v[70:71], -v[72:73]
	;; [unrolled: 1-line block ×3, first 2 shown]
	v_fma_f64 v[32:33], v[94:95], v[66:67], v[68:69]
	v_fma_f64 v[14:15], v[74:75], v[82:83], v[84:85]
	v_fma_f64 v[10:11], v[30:31], v[82:83], -v[116:117]
	v_fma_f64 v[38:39], v[88:89], v[44:45], v[106:107]
	v_fma_f64 v[12:13], v[96:97], v[70:71], v[114:115]
	;; [unrolled: 1-line block ×3, first 2 shown]
	v_add_f64 v[22:23], v[56:57], v[58:59]
	v_add_f64 v[40:41], v[54:55], -v[56:57]
	v_add_f64 v[44:45], v[60:61], -v[58:59]
	v_add_f64 v[62:63], v[54:55], v[60:61]
	v_add_f64 v[64:65], v[56:57], -v[54:55]
	v_add_f64 v[66:67], v[58:59], -v[60:61]
	v_add_f64 v[68:69], v[20:21], v[16:17]
	v_add_f64 v[70:71], v[18:19], v[8:9]
	;; [unrolled: 1-line block ×5, first 2 shown]
	v_add_f64 v[72:73], v[16:17], -v[18:19]
	v_add_f64 v[84:85], v[18:19], -v[16:17]
	;; [unrolled: 1-line block ×9, first 2 shown]
	v_add_f64 v[108:109], v[26:27], v[54:55]
	v_add_f64 v[40:41], v[40:41], v[44:45]
	;; [unrolled: 1-line block ×3, first 2 shown]
	v_fma_f64 v[22:23], v[22:23], -0.5, v[26:27]
	v_fma_f64 v[64:65], v[70:71], -0.5, v[20:21]
	v_add_f64 v[18:19], v[68:69], v[18:19]
	v_fma_f64 v[26:27], v[62:63], -0.5, v[26:27]
	v_fma_f64 v[62:63], v[104:105], -0.5, v[42:43]
	;; [unrolled: 1-line block ×3, first 2 shown]
	v_add_f64 v[102:103], v[34:35], -v[32:33]
	v_fma_f64 v[20:21], v[82:83], -0.5, v[20:21]
	v_add_f64 v[30:31], v[48:49], -v[12:13]
	v_add_f64 v[74:75], v[10:11], -v[8:9]
	;; [unrolled: 1-line block ×4, first 2 shown]
	v_add_f64 v[70:71], v[84:85], v[86:87]
	v_add_f64 v[68:69], v[88:89], v[90:91]
	;; [unrolled: 1-line block ×3, first 2 shown]
	v_fma_f64 v[18:19], v[96:97], s[2:3], v[26:27]
	v_fma_f64 v[26:27], v[96:97], s[12:13], v[26:27]
	;; [unrolled: 1-line block ×8, first 2 shown]
	v_add_f64 v[74:75], v[72:73], v[74:75]
	v_add_f64 v[82:83], v[92:93], v[94:95]
	v_fma_f64 v[72:73], v[30:31], s[12:13], v[22:23]
	v_fma_f64 v[22:23], v[30:31], s[2:3], v[22:23]
	;; [unrolled: 1-line block ×13, first 2 shown]
	v_add_f64 v[94:95], v[108:109], v[56:57]
	v_fma_f64 v[92:93], v[96:97], s[10:11], v[72:73]
	v_fma_f64 v[64:65], v[68:69], s[16:17], v[64:65]
	v_fma_f64 v[66:67], v[82:83], s[16:17], v[88:89]
	v_fma_f64 v[90:91], v[100:101], s[10:11], v[62:63]
	v_fma_f64 v[62:63], v[70:71], s[16:17], v[20:21]
	v_fma_f64 v[72:73], v[74:75], s[16:17], v[30:31]
	v_fma_f64 v[30:31], v[74:75], s[16:17], v[84:85]
	v_add_f64 v[20:21], v[94:95], v[58:59]
	v_fma_f64 v[74:75], v[70:71], s[16:17], v[86:87]
	v_fma_f64 v[70:71], v[82:83], s[16:17], v[16:17]
	v_mul_f64 v[16:17], v[64:65], s[10:11]
	v_mul_f64 v[82:83], v[66:67], s[12:13]
	;; [unrolled: 1-line block ×3, first 2 shown]
	v_fma_f64 v[22:23], v[96:97], s[6:7], v[22:23]
	v_fma_f64 v[68:69], v[68:69], s[16:17], v[90:91]
	v_mul_f64 v[86:87], v[30:31], s[18:19]
	v_fma_f64 v[18:19], v[44:45], s[16:17], v[18:19]
	v_fma_f64 v[88:89], v[40:41], s[16:17], v[92:93]
	;; [unrolled: 1-line block ×5, first 2 shown]
	v_add_f64 v[20:21], v[20:21], v[60:61]
	v_add_f64 v[82:83], v[8:9], v[10:11]
	v_fma_f64 v[84:85], v[70:71], s[12:13], -v[84:85]
	v_fma_f64 v[22:23], v[40:41], s[16:17], v[22:23]
	v_fma_f64 v[40:41], v[68:69], s[10:11], -v[86:87]
	v_add_f64 v[86:87], v[88:89], v[16:17]
	v_add_f64 v[8:9], v[88:89], -v[16:17]
	v_add_f64 v[10:11], v[18:19], -v[44:45]
	v_add_f64 v[44:45], v[18:19], v[44:45]
	v_add_f64 v[88:89], v[20:21], v[82:83]
	;; [unrolled: 1-line block ×3, first 2 shown]
	v_add_f64 v[20:21], v[20:21], -v[82:83]
	v_add_f64 v[18:19], v[22:23], -v[40:41]
	v_add_f64 v[22:23], v[22:23], v[40:41]
	v_add_f64 v[16:17], v[26:27], -v[84:85]
	v_mov_b32_e32 v26, 3
	v_lshlrev_b32_sdwa v25, v26, v25 dst_sel:DWORD dst_unused:UNUSED_PAD src0_sel:DWORD src1_sel:BYTE_0
	v_add3_u32 v82, v24, v25, v80
	v_add_u32_e32 v83, 0x400, v78
	ds_write2_b64 v82, v[88:89], v[86:87] offset1:6
	ds_write2_b64 v82, v[44:45], v[90:91] offset0:12 offset1:18
	ds_write2_b64 v82, v[22:23], v[20:21] offset0:24 offset1:30
	;; [unrolled: 1-line block ×4, first 2 shown]
	s_waitcnt lgkmcnt(0)
	s_barrier
	ds_read2_b64 v[24:27], v83 offset0:52 offset1:232
	ds_read2_b64 v[20:23], v81 offset0:28 offset1:208
	ds_read_b64 v[40:41], v79
	ds_read_b64 v[44:45], v78 offset:7200
	s_and_saveexec_b64 s[20:21], vcc
	s_cbranch_execz .LBB0_21
; %bb.20:
	v_add_u32_e32 v0, 0x200, v78
	ds_read2_b64 v[8:11], v0 offset0:44 offset1:224
	v_add_u32_e32 v0, 0xe00, v78
	ds_read2_b64 v[16:19], v0 offset0:20 offset1:200
	;; [unrolled: 2-line block ×3, first 2 shown]
.LBB0_21:
	s_or_b64 exec, exec, s[20:21]
	v_add_f64 v[84:85], v[38:39], v[36:37]
	v_add_f64 v[86:87], v[48:49], v[12:13]
	v_add_f64 v[88:89], v[28:29], v[48:49]
	v_add_f64 v[54:55], v[54:55], -v[60:61]
	v_add_f64 v[42:43], v[42:43], v[46:47]
	v_add_f64 v[56:57], v[56:57], -v[58:59]
	v_add_f64 v[58:59], v[48:49], -v[38:39]
	;; [unrolled: 1-line block ×3, first 2 shown]
	v_fma_f64 v[84:85], v[84:85], -0.5, v[28:29]
	v_fma_f64 v[28:29], v[86:87], -0.5, v[28:29]
	v_add_f64 v[48:49], v[38:39], -v[48:49]
	v_mul_f64 v[46:47], v[72:73], s[6:7]
	v_mul_f64 v[72:73], v[74:75], s[2:3]
	v_add_f64 v[38:39], v[88:89], v[38:39]
	v_add_f64 v[34:35], v[42:43], v[34:35]
	v_add_f64 v[86:87], v[36:37], -v[12:13]
	v_fma_f64 v[74:75], v[54:55], s[2:3], v[84:85]
	v_fma_f64 v[84:85], v[54:55], s[12:13], v[84:85]
	;; [unrolled: 1-line block ×4, first 2 shown]
	v_add_f64 v[42:43], v[58:59], v[60:61]
	v_add_f64 v[36:37], v[38:39], v[36:37]
	;; [unrolled: 1-line block ×4, first 2 shown]
	v_fma_f64 v[38:39], v[56:57], s[6:7], v[74:75]
	v_fma_f64 v[56:57], v[56:57], s[10:11], v[84:85]
	;; [unrolled: 1-line block ×4, first 2 shown]
	v_mul_f64 v[34:35], v[70:71], s[16:17]
	v_mul_f64 v[54:55], v[68:69], s[18:19]
	v_add_f64 v[12:13], v[36:37], v[12:13]
	v_add_f64 v[14:15], v[32:33], v[14:15]
	v_fma_f64 v[36:37], v[42:43], s[16:17], v[38:39]
	v_fma_f64 v[32:33], v[64:65], s[18:19], v[46:47]
	;; [unrolled: 1-line block ×6, first 2 shown]
	v_fma_f64 v[34:35], v[62:63], s[2:3], -v[34:35]
	v_fma_f64 v[30:31], v[30:31], s[6:7], -v[54:55]
	v_add_f64 v[48:49], v[12:13], v[14:15]
	v_add_f64 v[54:55], v[36:37], v[32:33]
	v_add_f64 v[62:63], v[12:13], -v[14:15]
	v_add_f64 v[12:13], v[36:37], -v[32:33]
	v_add_u32_e32 v32, 0x1000, v78
	v_add_f64 v[56:57], v[42:43], v[46:47]
	v_add_f64 v[58:59], v[28:29], v[34:35]
	v_add_f64 v[60:61], v[38:39], v[30:31]
	v_add_f64 v[14:15], v[42:43], -v[46:47]
	v_add_f64 v[28:29], v[28:29], -v[34:35]
	;; [unrolled: 1-line block ×3, first 2 shown]
	s_waitcnt lgkmcnt(0)
	s_barrier
	ds_write2_b64 v82, v[48:49], v[54:55] offset1:6
	ds_write2_b64 v82, v[56:57], v[58:59] offset0:12 offset1:18
	ds_write2_b64 v82, v[60:61], v[62:63] offset0:24 offset1:30
	;; [unrolled: 1-line block ×4, first 2 shown]
	s_waitcnt lgkmcnt(0)
	s_barrier
	ds_read2_b64 v[36:39], v83 offset0:52 offset1:232
	ds_read2_b64 v[32:35], v32 offset0:28 offset1:208
	ds_read_b64 v[42:43], v79
	ds_read_b64 v[46:47], v78 offset:7200
	s_and_saveexec_b64 s[2:3], vcc
	s_cbranch_execz .LBB0_23
; %bb.22:
	v_add_u32_e32 v4, 0x200, v78
	ds_read2_b64 v[12:15], v4 offset0:44 offset1:224
	v_add_u32_e32 v4, 0xe00, v78
	ds_read2_b64 v[28:31], v4 offset0:20 offset1:200
	;; [unrolled: 2-line block ×3, first 2 shown]
.LBB0_23:
	s_or_b64 exec, exec, s[2:3]
	v_subrev_u32_e32 v48, 60, v76
	v_cmp_gt_u32_e64 s[2:3], 60, v76
	v_cndmask_b32_e64 v62, v48, v76, s[2:3]
	v_mul_i32_i24_e32 v48, 5, v62
	v_mov_b32_e32 v49, 0
	v_lshlrev_b64 v[48:49], 4, v[48:49]
	v_mov_b32_e32 v54, s9
	v_add_co_u32_e64 v48, s[2:3], s8, v48
	v_addc_co_u32_e64 v49, s[2:3], v54, v49, s[2:3]
	s_movk_i32 s2, 0x89
	v_mul_lo_u16_sdwa v63, v77, s2 dst_sel:DWORD dst_unused:UNUSED_PAD src0_sel:BYTE_0 src1_sel:DWORD
	v_lshrrev_b16_e32 v81, 13, v63
	v_mul_lo_u16_e32 v63, 60, v81
	v_sub_u16_e32 v82, v77, v63
	v_mov_b32_e32 v63, 5
	v_mul_u32_u24_sdwa v63, v82, v63 dst_sel:DWORD dst_unused:UNUSED_PAD src0_sel:BYTE_0 src1_sel:DWORD
	global_load_dwordx4 v[58:61], v[48:49], off offset:912
	global_load_dwordx4 v[66:69], v[48:49], off offset:896
	;; [unrolled: 1-line block ×5, first 2 shown]
	v_lshlrev_b32_e32 v48, 4, v63
	global_load_dwordx4 v[88:91], v48, s[8:9] offset:864
	global_load_dwordx4 v[92:95], v48, s[8:9] offset:880
	global_load_dwordx4 v[96:99], v48, s[8:9] offset:896
	global_load_dwordx4 v[100:103], v48, s[8:9] offset:912
	global_load_dwordx4 v[104:107], v48, s[8:9] offset:928
	v_mov_b32_e32 v48, 0xb40
	v_cmp_lt_u32_e64 s[2:3], 59, v76
	v_cndmask_b32_e64 v48, 0, v48, s[2:3]
	v_add_u32_e32 v48, 0, v48
	v_lshlrev_b32_e32 v49, 3, v62
	v_add3_u32 v83, v48, v49, v80
	s_mov_b32 s6, 0xe8584caa
	s_mov_b32 s7, 0x3febb67a
	;; [unrolled: 1-line block ×4, first 2 shown]
	s_movk_i32 s12, 0xb40
	s_waitcnt vmcnt(0) lgkmcnt(0)
	s_barrier
	v_mul_f64 v[74:75], v[34:35], v[60:61]
	v_mul_f64 v[60:61], v[22:23], v[60:61]
	;; [unrolled: 1-line block ×18, first 2 shown]
	v_fma_f64 v[116:117], v[24:25], v[54:55], -v[48:49]
	v_fma_f64 v[54:55], v[36:37], v[54:55], v[56:57]
	v_mul_f64 v[36:37], v[4:5], v[102:103]
	v_fma_f64 v[64:65], v[38:39], v[70:71], v[64:65]
	v_fma_f64 v[38:39], v[20:21], v[66:67], -v[72:73]
	v_fma_f64 v[56:57], v[32:33], v[66:67], v[68:69]
	v_fma_f64 v[66:67], v[22:23], v[58:59], -v[74:75]
	v_fma_f64 v[32:33], v[34:35], v[58:59], v[60:61]
	v_fma_f64 v[34:35], v[44:45], v[84:85], -v[108:109]
	v_fma_f64 v[44:45], v[46:47], v[84:85], v[86:87]
	v_fma_f64 v[22:23], v[14:15], v[88:89], v[90:91]
	v_fma_f64 v[14:15], v[18:19], v[96:97], -v[114:115]
	v_fma_f64 v[24:25], v[30:31], v[96:97], v[98:99]
	v_fma_f64 v[2:3], v[2:3], v[104:105], -v[118:119]
	v_fma_f64 v[18:19], v[6:7], v[104:105], v[106:107]
	v_mul_f64 v[102:103], v[0:1], v[102:103]
	v_fma_f64 v[62:63], v[26:27], v[70:71], -v[62:63]
	v_fma_f64 v[10:11], v[10:11], v[88:89], -v[110:111]
	;; [unrolled: 1-line block ×3, first 2 shown]
	v_fma_f64 v[48:49], v[28:29], v[92:93], v[94:95]
	v_fma_f64 v[28:29], v[0:1], v[100:101], -v[36:37]
	v_add_f64 v[16:17], v[116:117], v[38:39]
	v_add_f64 v[30:31], v[38:39], v[34:35]
	;; [unrolled: 1-line block ×5, first 2 shown]
	v_fma_f64 v[20:21], v[4:5], v[100:101], v[102:103]
	v_add_f64 v[0:1], v[40:41], v[62:63]
	v_add_f64 v[4:5], v[62:63], v[66:67]
	v_add_f64 v[36:37], v[56:57], -v[44:45]
	v_add_f64 v[38:39], v[38:39], -v[34:35]
	v_add_f64 v[58:59], v[8:9], v[26:27]
	v_add_f64 v[60:61], v[26:27], v[28:29]
	;; [unrolled: 1-line block ×3, first 2 shown]
	v_add_f64 v[86:87], v[24:25], -v[18:19]
	v_add_f64 v[14:15], v[14:15], -v[2:3]
	v_fma_f64 v[46:47], v[46:47], -0.5, v[54:55]
	v_fma_f64 v[74:75], v[30:31], -0.5, v[116:117]
	v_add_f64 v[16:17], v[16:17], v[34:35]
	v_fma_f64 v[34:35], v[72:73], -0.5, v[22:23]
	v_fma_f64 v[10:11], v[70:71], -0.5, v[10:11]
	v_add_f64 v[88:89], v[0:1], v[66:67]
	v_fma_f64 v[4:5], v[4:5], -0.5, v[40:41]
	v_add_f64 v[0:1], v[58:59], v[28:29]
	v_fma_f64 v[8:9], v[60:61], -0.5, v[8:9]
	v_fma_f64 v[60:61], v[38:39], s[10:11], v[46:47]
	v_fma_f64 v[58:59], v[36:37], s[10:11], v[74:75]
	v_fma_f64 v[40:41], v[14:15], s[10:11], v[34:35]
	v_fma_f64 v[30:31], v[86:87], s[10:11], v[10:11]
	v_add_f64 v[6:7], v[64:65], -v[32:33]
	v_add_f64 v[84:85], v[48:49], -v[20:21]
	v_add_f64 v[2:3], v[68:69], v[2:3]
	v_fma_f64 v[72:73], v[36:37], s[6:7], v[74:75]
	v_fma_f64 v[74:75], v[38:39], s[6:7], v[46:47]
	v_mul_f64 v[36:37], v[60:61], s[6:7]
	v_mul_f64 v[38:39], v[58:59], -0.5
	v_fma_f64 v[70:71], v[86:87], s[6:7], v[10:11]
	v_fma_f64 v[68:69], v[14:15], s[6:7], v[34:35]
	v_mul_f64 v[10:11], v[40:41], s[6:7]
	v_mul_f64 v[14:15], v[30:31], -0.5
	v_fma_f64 v[90:91], v[6:7], s[6:7], v[4:5]
	v_fma_f64 v[46:47], v[6:7], s[10:11], v[4:5]
	v_fma_f64 v[36:37], v[72:73], 0.5, v[36:37]
	v_fma_f64 v[38:39], v[74:75], s[6:7], v[38:39]
	v_fma_f64 v[6:7], v[84:85], s[6:7], v[8:9]
	;; [unrolled: 1-line block ×3, first 2 shown]
	v_fma_f64 v[10:11], v[70:71], 0.5, v[10:11]
	v_fma_f64 v[8:9], v[68:69], s[6:7], v[14:15]
	v_add_f64 v[86:87], v[88:89], v[16:17]
	v_add_f64 v[14:15], v[88:89], -v[16:17]
	v_add_f64 v[34:35], v[0:1], -v[2:3]
	v_add_f64 v[16:17], v[90:91], v[36:37]
	v_add_f64 v[84:85], v[46:47], v[38:39]
	v_add_f64 v[88:89], v[90:91], -v[36:37]
	v_add_f64 v[46:47], v[46:47], -v[38:39]
	;; [unrolled: 1-line block ×4, first 2 shown]
	v_add_u32_e32 v90, 0x400, v83
	ds_write2_b64 v83, v[86:87], v[16:17] offset1:60
	ds_write2_b64 v83, v[84:85], v[14:15] offset0:120 offset1:180
	ds_write2_b64 v90, v[88:89], v[46:47] offset0:112 offset1:172
	s_and_saveexec_b64 s[2:3], vcc
	s_cbranch_execz .LBB0_25
; %bb.24:
	v_add_f64 v[6:7], v[6:7], v[10:11]
	v_add_f64 v[0:1], v[0:1], v[2:3]
	;; [unrolled: 1-line block ×3, first 2 shown]
	v_mov_b32_e32 v5, 3
	v_mad_u32_u24 v4, v81, s12, 0
	v_lshlrev_b32_sdwa v5, v5, v82 dst_sel:DWORD dst_unused:UNUSED_PAD src0_sel:DWORD src1_sel:BYTE_0
	v_add3_u32 v4, v4, v5, v80
	ds_write2_b64 v4, v[0:1], v[6:7] offset1:60
	ds_write2_b64 v4, v[2:3], v[34:35] offset0:120 offset1:180
	v_add_u32_e32 v0, 0x400, v4
	ds_write2_b64 v0, v[38:39], v[36:37] offset0:112 offset1:172
.LBB0_25:
	s_or_b64 exec, exec, s[2:3]
	v_add_u32_e32 v0, 0x800, v78
	s_waitcnt lgkmcnt(0)
	s_barrier
	ds_read2_b64 v[8:11], v0 offset0:104 offset1:212
	v_add_u32_e32 v0, 0x1000, v78
	v_add_u32_e32 v14, 0x1800, v78
	ds_read_b64 v[46:47], v79
	ds_read2_b64 v[4:7], v0 offset0:64 offset1:208
	ds_read2_b64 v[0:3], v78 offset0:108 offset1:216
	;; [unrolled: 1-line block ×3, first 2 shown]
	v_cmp_gt_u32_e64 s[2:3], 36, v76
	s_and_saveexec_b64 s[6:7], s[2:3]
	s_cbranch_execz .LBB0_27
; %bb.26:
	ds_read_b64 v[34:35], v78 offset:2592
	ds_read_b64 v[38:39], v78 offset:5472
	;; [unrolled: 1-line block ×3, first 2 shown]
.LBB0_27:
	s_or_b64 exec, exec, s[6:7]
	v_add_f64 v[84:85], v[64:65], v[32:33]
	v_add_f64 v[54:55], v[54:55], v[56:57]
	v_add_f64 v[62:63], v[62:63], -v[66:67]
	v_add_f64 v[66:67], v[48:49], v[20:21]
	s_mov_b32 s6, 0xe8584caa
	s_mov_b32 s7, 0xbfebb67a
	v_add_f64 v[64:65], v[42:43], v[64:65]
	v_mul_f64 v[56:57], v[74:75], -0.5
	v_fma_f64 v[42:43], v[84:85], -0.5, v[42:43]
	v_add_f64 v[44:45], v[54:55], v[44:45]
	v_mul_f64 v[54:55], v[72:73], s[6:7]
	v_add_f64 v[48:49], v[12:13], v[48:49]
	v_fma_f64 v[12:13], v[66:67], -0.5, v[12:13]
	v_add_f64 v[26:27], v[26:27], -v[28:29]
	v_add_f64 v[28:29], v[22:23], v[24:25]
	v_mul_f64 v[66:67], v[70:71], s[6:7]
	v_mul_f64 v[68:69], v[68:69], -0.5
	s_mov_b32 s11, 0x3febb67a
	v_add_f64 v[32:33], v[64:65], v[32:33]
	s_mov_b32 s10, s6
	v_fma_f64 v[64:65], v[62:63], s[6:7], v[42:43]
	v_fma_f64 v[54:55], v[60:61], 0.5, v[54:55]
	v_fma_f64 v[42:43], v[62:63], s[10:11], v[42:43]
	v_fma_f64 v[56:57], v[58:59], s[6:7], v[56:57]
	v_add_f64 v[20:21], v[48:49], v[20:21]
	v_fma_f64 v[22:23], v[26:27], s[6:7], v[12:13]
	v_fma_f64 v[24:25], v[26:27], s[10:11], v[12:13]
	v_add_f64 v[18:19], v[28:29], v[18:19]
	v_fma_f64 v[26:27], v[40:41], 0.5, v[66:67]
	v_fma_f64 v[28:29], v[30:31], s[6:7], v[68:69]
	v_add_f64 v[62:63], v[32:33], v[44:45]
	v_add_f64 v[30:31], v[64:65], v[54:55]
	;; [unrolled: 1-line block ×3, first 2 shown]
	v_add_f64 v[32:33], v[32:33], -v[44:45]
	v_add_f64 v[44:45], v[64:65], -v[54:55]
	;; [unrolled: 1-line block ×6, first 2 shown]
	s_waitcnt lgkmcnt(0)
	s_barrier
	ds_write2_b64 v83, v[62:63], v[30:31] offset1:60
	ds_write2_b64 v83, v[48:49], v[32:33] offset0:120 offset1:180
	v_add_u32_e32 v30, 0x400, v83
	ds_write2_b64 v30, v[44:45], v[54:55] offset0:112 offset1:172
	s_and_saveexec_b64 s[6:7], vcc
	s_cbranch_execz .LBB0_29
; %bb.28:
	v_add_f64 v[18:19], v[20:21], v[18:19]
	v_add_f64 v[20:21], v[22:23], v[26:27]
	;; [unrolled: 1-line block ×3, first 2 shown]
	s_movk_i32 s10, 0xb40
	v_mov_b32_e32 v24, 3
	v_mad_u32_u24 v25, v81, s10, 0
	v_lshlrev_b32_sdwa v24, v24, v82 dst_sel:DWORD dst_unused:UNUSED_PAD src0_sel:DWORD src1_sel:BYTE_0
	v_add3_u32 v24, v25, v24, v80
	ds_write2_b64 v24, v[18:19], v[20:21] offset1:60
	ds_write2_b64 v24, v[22:23], v[12:13] offset0:120 offset1:180
	v_add_u32_e32 v18, 0x400, v24
	ds_write2_b64 v18, v[42:43], v[40:41] offset0:112 offset1:172
.LBB0_29:
	s_or_b64 exec, exec, s[6:7]
	v_add_u32_e32 v18, 0x800, v78
	s_waitcnt lgkmcnt(0)
	s_barrier
	ds_read2_b64 v[26:29], v18 offset0:104 offset1:212
	v_add_u32_e32 v18, 0x1000, v78
	v_add_u32_e32 v30, 0x1800, v78
	ds_read_b64 v[48:49], v79
	ds_read2_b64 v[22:25], v18 offset0:64 offset1:208
	ds_read2_b64 v[18:21], v78 offset0:108 offset1:216
	;; [unrolled: 1-line block ×3, first 2 shown]
	s_and_saveexec_b64 s[6:7], s[2:3]
	s_cbranch_execz .LBB0_31
; %bb.30:
	ds_read_b64 v[12:13], v78 offset:2592
	ds_read_b64 v[42:43], v78 offset:5472
	;; [unrolled: 1-line block ×3, first 2 shown]
.LBB0_31:
	s_or_b64 exec, exec, s[6:7]
	s_and_saveexec_b64 s[6:7], s[0:1]
	s_cbranch_execz .LBB0_34
; %bb.32:
	v_lshlrev_b32_e32 v54, 1, v76
	v_add_u32_e32 v44, 0x1b0, v54
	v_mov_b32_e32 v45, 0
	v_lshlrev_b64 v[55:56], 4, v[44:45]
	v_mov_b32_e32 v57, s9
	v_add_co_u32_e32 v44, vcc, s8, v55
	v_addc_co_u32_e32 v78, vcc, v57, v56, vcc
	s_movk_i32 s6, 0x1620
	v_add_co_u32_e32 v74, vcc, s6, v44
	v_addc_co_u32_e32 v75, vcc, 0, v78, vcc
	s_movk_i32 s10, 0x1000
	v_add_co_u32_e32 v81, vcc, s10, v44
	v_lshlrev_b32_e32 v44, 1, v77
	v_lshlrev_b64 v[55:56], 4, v[44:45]
	v_addc_co_u32_e32 v82, vcc, 0, v78, vcc
	v_add_co_u32_e64 v44, s[0:1], s8, v55
	v_addc_co_u32_e64 v66, s[0:1], v57, v56, s[0:1]
	v_mov_b32_e32 v55, v45
	v_add_co_u32_e64 v70, s[0:1], s6, v44
	v_lshlrev_b64 v[54:55], 4, v[54:55]
	v_addc_co_u32_e64 v71, s[0:1], 0, v66, s[0:1]
	v_add_co_u32_e64 v54, s[0:1], s8, v54
	v_addc_co_u32_e64 v55, s[0:1], v57, v55, s[0:1]
	v_add_co_u32_e64 v62, s[0:1], s6, v54
	;; [unrolled: 2-line block ×4, first 2 shown]
	v_addc_co_u32_e64 v73, s[0:1], 0, v66, s[0:1]
	global_load_dwordx4 v[54:57], v[64:65], off offset:1568
	global_load_dwordx4 v[58:61], v[62:63], off offset:16
	s_nop 0
	global_load_dwordx4 v[62:65], v[72:73], off offset:1568
	global_load_dwordx4 v[66:69], v[70:71], off offset:16
	s_nop 0
	global_load_dwordx4 v[70:73], v[81:82], off offset:1568
	global_load_dwordx4 v[77:80], v[74:75], off offset:16
	v_mul_lo_u32 v44, s5, v52
	v_mul_lo_u32 v53, s4, v53
	v_mad_u64_u32 v[74:75], s[0:1], s4, v52, 0
	s_mov_b32 s4, 0xe8584caa
	s_mov_b32 s5, 0x3febb67a
	v_add3_u32 v75, v75, v53, v44
	s_mov_b32 s7, 0xbfebb67a
	s_mov_b32 s6, s4
	;; [unrolled: 1-line block ×3, first 2 shown]
	s_movk_i32 s11, 0x2000
	s_movk_i32 s1, 0x168
	s_waitcnt vmcnt(5) lgkmcnt(4)
	v_mul_f64 v[52:53], v[26:27], v[56:57]
	s_waitcnt vmcnt(4) lgkmcnt(2)
	v_mul_f64 v[81:82], v[24:25], v[60:61]
	v_mul_f64 v[56:57], v[8:9], v[56:57]
	;; [unrolled: 1-line block ×3, first 2 shown]
	s_waitcnt vmcnt(3)
	v_mul_f64 v[83:84], v[28:29], v[64:65]
	s_waitcnt vmcnt(2) lgkmcnt(0)
	v_mul_f64 v[85:86], v[30:31], v[68:69]
	v_mul_f64 v[64:65], v[10:11], v[64:65]
	;; [unrolled: 1-line block ×3, first 2 shown]
	s_waitcnt vmcnt(1)
	v_mul_f64 v[87:88], v[22:23], v[72:73]
	s_waitcnt vmcnt(0)
	v_mul_f64 v[89:90], v[32:33], v[79:80]
	v_mul_f64 v[72:73], v[4:5], v[72:73]
	;; [unrolled: 1-line block ×3, first 2 shown]
	v_fma_f64 v[52:53], v[8:9], v[54:55], -v[52:53]
	v_fma_f64 v[81:82], v[6:7], v[58:59], -v[81:82]
	v_fma_f64 v[54:55], v[26:27], v[54:55], v[56:57]
	v_fma_f64 v[56:57], v[24:25], v[58:59], v[60:61]
	v_fma_f64 v[6:7], v[10:11], v[62:63], -v[83:84]
	v_fma_f64 v[8:9], v[14:15], v[66:67], -v[85:86]
	v_fma_f64 v[10:11], v[28:29], v[62:63], v[64:65]
	v_fma_f64 v[14:15], v[30:31], v[66:67], v[68:69]
	;; [unrolled: 4-line block ×3, first 2 shown]
	v_add_f64 v[26:27], v[54:55], v[56:57]
	v_add_f64 v[64:65], v[6:7], v[8:9]
	;; [unrolled: 1-line block ×6, first 2 shown]
	v_add_f64 v[28:29], v[6:7], -v[8:9]
	v_add_f64 v[70:71], v[22:23], v[24:25]
	v_add_f64 v[62:63], v[18:19], v[10:11]
	v_add_f64 v[66:67], v[10:11], -v[14:15]
	v_add_f64 v[10:11], v[0:1], v[6:7]
	v_add_f64 v[68:69], v[4:5], -v[16:17]
	;; [unrolled: 2-line block ×3, first 2 shown]
	v_add_f64 v[22:23], v[2:3], v[4:5]
	v_fma_f64 v[48:49], v[26:27], -0.5, v[48:49]
	v_fma_f64 v[18:19], v[60:61], -0.5, v[18:19]
	;; [unrolled: 1-line block ×5, first 2 shown]
	v_add_f64 v[30:31], v[52:53], -v[81:82]
	v_add_f64 v[6:7], v[62:63], v[14:15]
	v_add_f64 v[4:5], v[10:11], v[8:9]
	;; [unrolled: 1-line block ×4, first 2 shown]
	v_fma_f64 v[16:17], v[28:29], s[4:5], v[18:19]
	v_fma_f64 v[20:21], v[28:29], s[6:7], v[18:19]
	;; [unrolled: 1-line block ×8, first 2 shown]
	v_fma_f64 v[0:1], v[32:33], -0.5, v[46:47]
	v_add_f64 v[2:3], v[54:55], -v[56:57]
	v_fma_f64 v[32:33], v[30:31], s[4:5], v[48:49]
	v_fma_f64 v[48:49], v[30:31], s[6:7], v[48:49]
	v_lshrrev_b32_e32 v30, 3, v76
	v_mul_hi_u32 v44, v30, s0
	v_add_f64 v[52:53], v[46:47], v[52:53]
	v_add_f64 v[54:55], v[58:59], v[56:57]
	v_fma_f64 v[30:31], v[2:3], s[6:7], v[0:1]
	v_fma_f64 v[46:47], v[2:3], s[4:5], v[0:1]
	v_lshrrev_b32_e32 v0, 2, v44
	v_mul_u32_u24_e32 v0, 0x168, v0
	v_sub_u32_e32 v44, v76, v0
	v_lshlrev_b64 v[0:1], 4, v[74:75]
	v_mov_b32_e32 v2, s15
	v_add_co_u32_e32 v3, vcc, s14, v0
	v_addc_co_u32_e32 v56, vcc, v2, v1, vcc
	v_lshlrev_b64 v[0:1], 4, v[50:51]
	v_add_f64 v[52:53], v[52:53], v[81:82]
	v_add_co_u32_e32 v2, vcc, v3, v0
	v_addc_co_u32_e32 v3, vcc, v56, v1, vcc
	v_lshlrev_b32_e32 v0, 4, v44
	v_add_co_u32_e32 v0, vcc, v2, v0
	v_addc_co_u32_e32 v1, vcc, 0, v3, vcc
	v_add_co_u32_e32 v50, vcc, s10, v0
	v_addc_co_u32_e32 v51, vcc, 0, v1, vcc
	v_add_u32_e32 v44, 0x6c, v76
	global_store_dwordx4 v[50:51], v[46:49], off offset:1664
	global_store_dwordx4 v[0:1], v[52:55], off
	v_lshrrev_b32_e32 v46, 3, v44
	v_mul_hi_u32 v46, v46, s0
	v_add_co_u32_e32 v0, vcc, s11, v0
	v_addc_co_u32_e32 v1, vcc, 0, v1, vcc
	global_store_dwordx4 v[0:1], v[30:33], off offset:3328
	v_lshrrev_b32_e32 v0, 2, v46
	v_mul_u32_u24_e32 v1, 0x168, v0
	v_sub_u32_e32 v1, v44, v1
	s_movk_i32 s11, 0x438
	v_mad_u32_u24 v44, v0, s11, v1
	v_lshlrev_b64 v[0:1], 4, v[44:45]
	v_add_co_u32_e32 v0, vcc, v2, v0
	v_addc_co_u32_e32 v1, vcc, v3, v1, vcc
	global_store_dwordx4 v[0:1], v[4:7], off
	v_add_u32_e32 v0, 0x168, v44
	v_mov_b32_e32 v1, v45
	v_lshlrev_b64 v[0:1], 4, v[0:1]
	v_add_u32_e32 v4, 0xd8, v76
	v_add_co_u32_e32 v0, vcc, v2, v0
	v_addc_co_u32_e32 v1, vcc, v3, v1, vcc
	v_add_u32_e32 v44, 0x2d0, v44
	v_lshrrev_b32_e32 v5, 3, v4
	global_store_dwordx4 v[0:1], v[18:21], off
	v_lshlrev_b64 v[0:1], 4, v[44:45]
	v_mul_hi_u32 v5, v5, s0
	v_add_co_u32_e32 v0, vcc, v2, v0
	v_addc_co_u32_e32 v1, vcc, v3, v1, vcc
	global_store_dwordx4 v[0:1], v[14:17], off
	v_lshrrev_b32_e32 v0, 2, v5
	v_mul_u32_u24_e32 v1, 0x168, v0
	v_sub_u32_e32 v1, v4, v1
	v_mad_u32_u24 v44, v0, s11, v1
	v_lshlrev_b64 v[0:1], 4, v[44:45]
	v_add_co_u32_e32 v0, vcc, v2, v0
	v_addc_co_u32_e32 v1, vcc, v3, v1, vcc
	global_store_dwordx4 v[0:1], v[8:11], off
	v_add_u32_e32 v0, 0x168, v44
	v_mov_b32_e32 v1, v45
	v_lshlrev_b64 v[0:1], 4, v[0:1]
	v_add_u32_e32 v44, 0x2d0, v44
	v_add_co_u32_e32 v0, vcc, v2, v0
	v_addc_co_u32_e32 v1, vcc, v3, v1, vcc
	global_store_dwordx4 v[0:1], v[26:29], off
	v_lshlrev_b64 v[0:1], 4, v[44:45]
	v_add_co_u32_e32 v0, vcc, v2, v0
	v_addc_co_u32_e32 v1, vcc, v3, v1, vcc
	global_store_dwordx4 v[0:1], v[22:25], off
	v_add_u32_e32 v0, 0x144, v76
	v_cmp_gt_u32_e32 vcc, s1, v0
	s_and_b64 exec, exec, vcc
	s_cbranch_execz .LBB0_34
; %bb.33:
	v_not_b32_e32 v1, 35
	v_mov_b32_e32 v4, 0x144
	v_cndmask_b32_e64 v1, v1, v4, s[2:3]
	v_add_lshl_u32 v44, v76, v1, 1
	v_lshlrev_b64 v[4:5], 4, v[44:45]
	v_mov_b32_e32 v1, s9
	v_add_co_u32_e32 v4, vcc, s8, v4
	v_addc_co_u32_e32 v1, vcc, v1, v5, vcc
	v_add_co_u32_e32 v8, vcc, 0x1620, v4
	s_mov_b64 s[0:1], vcc
	v_add_co_u32_e32 v4, vcc, s10, v4
	v_addc_co_u32_e32 v5, vcc, 0, v1, vcc
	v_addc_co_u32_e64 v9, vcc, 0, v1, s[0:1]
	global_load_dwordx4 v[4:7], v[4:5], off offset:1568
	v_mov_b32_e32 v1, v45
	global_load_dwordx4 v[8:11], v[8:9], off offset:16
	v_lshlrev_b64 v[0:1], 4, v[0:1]
	v_add_u32_e32 v44, 0x2ac, v76
	v_add_co_u32_e32 v0, vcc, v2, v0
	v_lshlrev_b64 v[24:25], 4, v[44:45]
	v_addc_co_u32_e32 v1, vcc, v3, v1, vcc
	v_add_u32_e32 v44, 0x414, v76
	v_lshlrev_b64 v[26:27], 4, v[44:45]
	s_waitcnt vmcnt(1)
	v_mul_f64 v[14:15], v[42:43], v[6:7]
	v_mul_f64 v[6:7], v[38:39], v[6:7]
	s_waitcnt vmcnt(0)
	v_mul_f64 v[16:17], v[40:41], v[10:11]
	v_mul_f64 v[10:11], v[36:37], v[10:11]
	v_fma_f64 v[14:15], v[38:39], v[4:5], -v[14:15]
	v_fma_f64 v[4:5], v[42:43], v[4:5], v[6:7]
	v_fma_f64 v[6:7], v[36:37], v[8:9], -v[16:17]
	v_fma_f64 v[8:9], v[40:41], v[8:9], v[10:11]
	v_add_f64 v[18:19], v[34:35], v[14:15]
	v_add_f64 v[22:23], v[12:13], v[4:5]
	;; [unrolled: 1-line block ×4, first 2 shown]
	v_add_f64 v[20:21], v[4:5], -v[8:9]
	v_add_f64 v[14:15], v[14:15], -v[6:7]
	v_add_f64 v[4:5], v[18:19], v[6:7]
	v_add_f64 v[6:7], v[22:23], v[8:9]
	v_fma_f64 v[10:11], v[10:11], -0.5, v[34:35]
	v_fma_f64 v[16:17], v[16:17], -0.5, v[12:13]
	v_fma_f64 v[8:9], v[20:21], s[4:5], v[10:11]
	v_fma_f64 v[12:13], v[20:21], s[6:7], v[10:11]
	;; [unrolled: 1-line block ×4, first 2 shown]
	v_add_co_u32_e32 v16, vcc, v2, v24
	v_addc_co_u32_e32 v17, vcc, v3, v25, vcc
	v_add_co_u32_e32 v2, vcc, v2, v26
	v_addc_co_u32_e32 v3, vcc, v3, v27, vcc
	global_store_dwordx4 v[0:1], v[4:7], off
	global_store_dwordx4 v[16:17], v[8:11], off
	;; [unrolled: 1-line block ×3, first 2 shown]
.LBB0_34:
	s_endpgm
	.section	.rodata,"a",@progbits
	.p2align	6, 0x0
	.amdhsa_kernel fft_rtc_fwd_len1080_factors_6_10_6_3_wgs_216_tpt_108_halfLds_dp_op_CI_CI_unitstride_sbrr_dirReg
		.amdhsa_group_segment_fixed_size 0
		.amdhsa_private_segment_fixed_size 0
		.amdhsa_kernarg_size 104
		.amdhsa_user_sgpr_count 6
		.amdhsa_user_sgpr_private_segment_buffer 1
		.amdhsa_user_sgpr_dispatch_ptr 0
		.amdhsa_user_sgpr_queue_ptr 0
		.amdhsa_user_sgpr_kernarg_segment_ptr 1
		.amdhsa_user_sgpr_dispatch_id 0
		.amdhsa_user_sgpr_flat_scratch_init 0
		.amdhsa_user_sgpr_private_segment_size 0
		.amdhsa_uses_dynamic_stack 0
		.amdhsa_system_sgpr_private_segment_wavefront_offset 0
		.amdhsa_system_sgpr_workgroup_id_x 1
		.amdhsa_system_sgpr_workgroup_id_y 0
		.amdhsa_system_sgpr_workgroup_id_z 0
		.amdhsa_system_sgpr_workgroup_info 0
		.amdhsa_system_vgpr_workitem_id 0
		.amdhsa_next_free_vgpr 120
		.amdhsa_next_free_sgpr 28
		.amdhsa_reserve_vcc 1
		.amdhsa_reserve_flat_scratch 0
		.amdhsa_float_round_mode_32 0
		.amdhsa_float_round_mode_16_64 0
		.amdhsa_float_denorm_mode_32 3
		.amdhsa_float_denorm_mode_16_64 3
		.amdhsa_dx10_clamp 1
		.amdhsa_ieee_mode 1
		.amdhsa_fp16_overflow 0
		.amdhsa_exception_fp_ieee_invalid_op 0
		.amdhsa_exception_fp_denorm_src 0
		.amdhsa_exception_fp_ieee_div_zero 0
		.amdhsa_exception_fp_ieee_overflow 0
		.amdhsa_exception_fp_ieee_underflow 0
		.amdhsa_exception_fp_ieee_inexact 0
		.amdhsa_exception_int_div_zero 0
	.end_amdhsa_kernel
	.text
.Lfunc_end0:
	.size	fft_rtc_fwd_len1080_factors_6_10_6_3_wgs_216_tpt_108_halfLds_dp_op_CI_CI_unitstride_sbrr_dirReg, .Lfunc_end0-fft_rtc_fwd_len1080_factors_6_10_6_3_wgs_216_tpt_108_halfLds_dp_op_CI_CI_unitstride_sbrr_dirReg
                                        ; -- End function
	.section	.AMDGPU.csdata,"",@progbits
; Kernel info:
; codeLenInByte = 8144
; NumSgprs: 32
; NumVgprs: 120
; ScratchSize: 0
; MemoryBound: 1
; FloatMode: 240
; IeeeMode: 1
; LDSByteSize: 0 bytes/workgroup (compile time only)
; SGPRBlocks: 3
; VGPRBlocks: 29
; NumSGPRsForWavesPerEU: 32
; NumVGPRsForWavesPerEU: 120
; Occupancy: 2
; WaveLimiterHint : 1
; COMPUTE_PGM_RSRC2:SCRATCH_EN: 0
; COMPUTE_PGM_RSRC2:USER_SGPR: 6
; COMPUTE_PGM_RSRC2:TRAP_HANDLER: 0
; COMPUTE_PGM_RSRC2:TGID_X_EN: 1
; COMPUTE_PGM_RSRC2:TGID_Y_EN: 0
; COMPUTE_PGM_RSRC2:TGID_Z_EN: 0
; COMPUTE_PGM_RSRC2:TIDIG_COMP_CNT: 0
	.type	__hip_cuid_35a4c81f444ac073,@object ; @__hip_cuid_35a4c81f444ac073
	.section	.bss,"aw",@nobits
	.globl	__hip_cuid_35a4c81f444ac073
__hip_cuid_35a4c81f444ac073:
	.byte	0                               ; 0x0
	.size	__hip_cuid_35a4c81f444ac073, 1

	.ident	"AMD clang version 19.0.0git (https://github.com/RadeonOpenCompute/llvm-project roc-6.4.0 25133 c7fe45cf4b819c5991fe208aaa96edf142730f1d)"
	.section	".note.GNU-stack","",@progbits
	.addrsig
	.addrsig_sym __hip_cuid_35a4c81f444ac073
	.amdgpu_metadata
---
amdhsa.kernels:
  - .args:
      - .actual_access:  read_only
        .address_space:  global
        .offset:         0
        .size:           8
        .value_kind:     global_buffer
      - .offset:         8
        .size:           8
        .value_kind:     by_value
      - .actual_access:  read_only
        .address_space:  global
        .offset:         16
        .size:           8
        .value_kind:     global_buffer
      - .actual_access:  read_only
        .address_space:  global
        .offset:         24
        .size:           8
        .value_kind:     global_buffer
      - .actual_access:  read_only
        .address_space:  global
        .offset:         32
        .size:           8
        .value_kind:     global_buffer
      - .offset:         40
        .size:           8
        .value_kind:     by_value
      - .actual_access:  read_only
        .address_space:  global
        .offset:         48
        .size:           8
        .value_kind:     global_buffer
      - .actual_access:  read_only
        .address_space:  global
        .offset:         56
        .size:           8
        .value_kind:     global_buffer
      - .offset:         64
        .size:           4
        .value_kind:     by_value
      - .actual_access:  read_only
        .address_space:  global
        .offset:         72
        .size:           8
        .value_kind:     global_buffer
      - .actual_access:  read_only
        .address_space:  global
        .offset:         80
        .size:           8
        .value_kind:     global_buffer
      - .actual_access:  read_only
        .address_space:  global
        .offset:         88
        .size:           8
        .value_kind:     global_buffer
      - .actual_access:  write_only
        .address_space:  global
        .offset:         96
        .size:           8
        .value_kind:     global_buffer
    .group_segment_fixed_size: 0
    .kernarg_segment_align: 8
    .kernarg_segment_size: 104
    .language:       OpenCL C
    .language_version:
      - 2
      - 0
    .max_flat_workgroup_size: 216
    .name:           fft_rtc_fwd_len1080_factors_6_10_6_3_wgs_216_tpt_108_halfLds_dp_op_CI_CI_unitstride_sbrr_dirReg
    .private_segment_fixed_size: 0
    .sgpr_count:     32
    .sgpr_spill_count: 0
    .symbol:         fft_rtc_fwd_len1080_factors_6_10_6_3_wgs_216_tpt_108_halfLds_dp_op_CI_CI_unitstride_sbrr_dirReg.kd
    .uniform_work_group_size: 1
    .uses_dynamic_stack: false
    .vgpr_count:     120
    .vgpr_spill_count: 0
    .wavefront_size: 64
amdhsa.target:   amdgcn-amd-amdhsa--gfx906
amdhsa.version:
  - 1
  - 2
...

	.end_amdgpu_metadata
